;; amdgpu-corpus repo=ROCm/rocFFT kind=compiled arch=gfx906 opt=O3
	.text
	.amdgcn_target "amdgcn-amd-amdhsa--gfx906"
	.amdhsa_code_object_version 6
	.protected	fft_rtc_fwd_len576_factors_16_6_6_wgs_96_tpt_96_halfLds_sp_op_CI_CI_sbrr_dirReg ; -- Begin function fft_rtc_fwd_len576_factors_16_6_6_wgs_96_tpt_96_halfLds_sp_op_CI_CI_sbrr_dirReg
	.globl	fft_rtc_fwd_len576_factors_16_6_6_wgs_96_tpt_96_halfLds_sp_op_CI_CI_sbrr_dirReg
	.p2align	8
	.type	fft_rtc_fwd_len576_factors_16_6_6_wgs_96_tpt_96_halfLds_sp_op_CI_CI_sbrr_dirReg,@function
fft_rtc_fwd_len576_factors_16_6_6_wgs_96_tpt_96_halfLds_sp_op_CI_CI_sbrr_dirReg: ; @fft_rtc_fwd_len576_factors_16_6_6_wgs_96_tpt_96_halfLds_sp_op_CI_CI_sbrr_dirReg
; %bb.0:
	s_load_dwordx4 s[16:19], s[4:5], 0x18
	s_load_dwordx4 s[12:15], s[4:5], 0x0
	;; [unrolled: 1-line block ×3, first 2 shown]
	v_mul_u32_u24_e32 v1, 0x2ab, v0
	v_mov_b32_e32 v7, 0
	s_waitcnt lgkmcnt(0)
	s_load_dwordx2 s[20:21], s[16:17], 0x0
	s_load_dwordx2 s[2:3], s[18:19], 0x0
	v_cmp_lt_u64_e64 s[0:1], s[14:15], 2
	v_mov_b32_e32 v5, 0
	v_add_u32_sdwa v9, s6, v1 dst_sel:DWORD dst_unused:UNUSED_PAD src0_sel:DWORD src1_sel:WORD_1
	v_mov_b32_e32 v10, v7
	s_and_b64 vcc, exec, s[0:1]
	v_mov_b32_e32 v6, 0
	s_cbranch_vccnz .LBB0_8
; %bb.1:
	s_load_dwordx2 s[0:1], s[4:5], 0x10
	s_add_u32 s6, s18, 8
	s_addc_u32 s7, s19, 0
	s_add_u32 s22, s16, 8
	s_addc_u32 s23, s17, 0
	v_mov_b32_e32 v5, 0
	s_waitcnt lgkmcnt(0)
	s_add_u32 s24, s0, 8
	v_mov_b32_e32 v6, 0
	v_mov_b32_e32 v1, v5
	s_addc_u32 s25, s1, 0
	s_mov_b64 s[26:27], 1
	v_mov_b32_e32 v2, v6
.LBB0_2:                                ; =>This Inner Loop Header: Depth=1
	s_load_dwordx2 s[28:29], s[24:25], 0x0
                                        ; implicit-def: $vgpr3_vgpr4
	s_waitcnt lgkmcnt(0)
	v_or_b32_e32 v8, s29, v10
	v_cmp_ne_u64_e32 vcc, 0, v[7:8]
	s_and_saveexec_b64 s[0:1], vcc
	s_xor_b64 s[30:31], exec, s[0:1]
	s_cbranch_execz .LBB0_4
; %bb.3:                                ;   in Loop: Header=BB0_2 Depth=1
	v_cvt_f32_u32_e32 v3, s28
	v_cvt_f32_u32_e32 v4, s29
	s_sub_u32 s0, 0, s28
	s_subb_u32 s1, 0, s29
	v_mac_f32_e32 v3, 0x4f800000, v4
	v_rcp_f32_e32 v3, v3
	v_mul_f32_e32 v3, 0x5f7ffffc, v3
	v_mul_f32_e32 v4, 0x2f800000, v3
	v_trunc_f32_e32 v4, v4
	v_mac_f32_e32 v3, 0xcf800000, v4
	v_cvt_u32_f32_e32 v4, v4
	v_cvt_u32_f32_e32 v3, v3
	v_mul_lo_u32 v8, s0, v4
	v_mul_hi_u32 v11, s0, v3
	v_mul_lo_u32 v13, s1, v3
	v_mul_lo_u32 v12, s0, v3
	v_add_u32_e32 v8, v11, v8
	v_add_u32_e32 v8, v8, v13
	v_mul_hi_u32 v11, v3, v12
	v_mul_lo_u32 v13, v3, v8
	v_mul_hi_u32 v15, v3, v8
	v_mul_hi_u32 v14, v4, v12
	v_mul_lo_u32 v12, v4, v12
	v_mul_hi_u32 v16, v4, v8
	v_add_co_u32_e32 v11, vcc, v11, v13
	v_addc_co_u32_e32 v13, vcc, 0, v15, vcc
	v_mul_lo_u32 v8, v4, v8
	v_add_co_u32_e32 v11, vcc, v11, v12
	v_addc_co_u32_e32 v11, vcc, v13, v14, vcc
	v_addc_co_u32_e32 v12, vcc, 0, v16, vcc
	v_add_co_u32_e32 v8, vcc, v11, v8
	v_addc_co_u32_e32 v11, vcc, 0, v12, vcc
	v_add_co_u32_e32 v3, vcc, v3, v8
	v_addc_co_u32_e32 v4, vcc, v4, v11, vcc
	v_mul_lo_u32 v8, s0, v4
	v_mul_hi_u32 v11, s0, v3
	v_mul_lo_u32 v12, s1, v3
	v_mul_lo_u32 v13, s0, v3
	v_add_u32_e32 v8, v11, v8
	v_add_u32_e32 v8, v8, v12
	v_mul_lo_u32 v14, v3, v8
	v_mul_hi_u32 v15, v3, v13
	v_mul_hi_u32 v16, v3, v8
	;; [unrolled: 1-line block ×3, first 2 shown]
	v_mul_lo_u32 v13, v4, v13
	v_mul_hi_u32 v11, v4, v8
	v_add_co_u32_e32 v14, vcc, v15, v14
	v_addc_co_u32_e32 v15, vcc, 0, v16, vcc
	v_mul_lo_u32 v8, v4, v8
	v_add_co_u32_e32 v13, vcc, v14, v13
	v_addc_co_u32_e32 v12, vcc, v15, v12, vcc
	v_addc_co_u32_e32 v11, vcc, 0, v11, vcc
	v_add_co_u32_e32 v8, vcc, v12, v8
	v_addc_co_u32_e32 v11, vcc, 0, v11, vcc
	v_add_co_u32_e32 v8, vcc, v3, v8
	v_addc_co_u32_e32 v11, vcc, v4, v11, vcc
	v_mad_u64_u32 v[3:4], s[0:1], v9, v11, 0
	v_mul_hi_u32 v12, v9, v8
	v_add_co_u32_e32 v13, vcc, v12, v3
	v_addc_co_u32_e32 v14, vcc, 0, v4, vcc
	v_mad_u64_u32 v[3:4], s[0:1], v10, v8, 0
	v_mad_u64_u32 v[11:12], s[0:1], v10, v11, 0
	v_add_co_u32_e32 v3, vcc, v13, v3
	v_addc_co_u32_e32 v3, vcc, v14, v4, vcc
	v_addc_co_u32_e32 v4, vcc, 0, v12, vcc
	v_add_co_u32_e32 v8, vcc, v3, v11
	v_addc_co_u32_e32 v11, vcc, 0, v4, vcc
	v_mul_lo_u32 v12, s29, v8
	v_mul_lo_u32 v13, s28, v11
	v_mad_u64_u32 v[3:4], s[0:1], s28, v8, 0
	v_add3_u32 v4, v4, v13, v12
	v_sub_u32_e32 v12, v10, v4
	v_mov_b32_e32 v13, s29
	v_sub_co_u32_e32 v3, vcc, v9, v3
	v_subb_co_u32_e64 v12, s[0:1], v12, v13, vcc
	v_subrev_co_u32_e64 v13, s[0:1], s28, v3
	v_subbrev_co_u32_e64 v12, s[0:1], 0, v12, s[0:1]
	v_cmp_le_u32_e64 s[0:1], s29, v12
	v_cndmask_b32_e64 v14, 0, -1, s[0:1]
	v_cmp_le_u32_e64 s[0:1], s28, v13
	v_cndmask_b32_e64 v13, 0, -1, s[0:1]
	v_cmp_eq_u32_e64 s[0:1], s29, v12
	v_cndmask_b32_e64 v12, v14, v13, s[0:1]
	v_add_co_u32_e64 v13, s[0:1], 2, v8
	v_addc_co_u32_e64 v14, s[0:1], 0, v11, s[0:1]
	v_add_co_u32_e64 v15, s[0:1], 1, v8
	v_addc_co_u32_e64 v16, s[0:1], 0, v11, s[0:1]
	v_subb_co_u32_e32 v4, vcc, v10, v4, vcc
	v_cmp_ne_u32_e64 s[0:1], 0, v12
	v_cmp_le_u32_e32 vcc, s29, v4
	v_cndmask_b32_e64 v12, v16, v14, s[0:1]
	v_cndmask_b32_e64 v14, 0, -1, vcc
	v_cmp_le_u32_e32 vcc, s28, v3
	v_cndmask_b32_e64 v3, 0, -1, vcc
	v_cmp_eq_u32_e32 vcc, s29, v4
	v_cndmask_b32_e32 v3, v14, v3, vcc
	v_cmp_ne_u32_e32 vcc, 0, v3
	v_cndmask_b32_e64 v3, v15, v13, s[0:1]
	v_cndmask_b32_e32 v4, v11, v12, vcc
	v_cndmask_b32_e32 v3, v8, v3, vcc
.LBB0_4:                                ;   in Loop: Header=BB0_2 Depth=1
	s_andn2_saveexec_b64 s[0:1], s[30:31]
	s_cbranch_execz .LBB0_6
; %bb.5:                                ;   in Loop: Header=BB0_2 Depth=1
	v_cvt_f32_u32_e32 v3, s28
	s_sub_i32 s30, 0, s28
	v_rcp_iflag_f32_e32 v3, v3
	v_mul_f32_e32 v3, 0x4f7ffffe, v3
	v_cvt_u32_f32_e32 v3, v3
	v_mul_lo_u32 v4, s30, v3
	v_mul_hi_u32 v4, v3, v4
	v_add_u32_e32 v3, v3, v4
	v_mul_hi_u32 v3, v9, v3
	v_mul_lo_u32 v4, v3, s28
	v_add_u32_e32 v8, 1, v3
	v_sub_u32_e32 v4, v9, v4
	v_subrev_u32_e32 v11, s28, v4
	v_cmp_le_u32_e32 vcc, s28, v4
	v_cndmask_b32_e32 v4, v4, v11, vcc
	v_cndmask_b32_e32 v3, v3, v8, vcc
	v_add_u32_e32 v8, 1, v3
	v_cmp_le_u32_e32 vcc, s28, v4
	v_cndmask_b32_e32 v3, v3, v8, vcc
	v_mov_b32_e32 v4, v7
.LBB0_6:                                ;   in Loop: Header=BB0_2 Depth=1
	s_or_b64 exec, exec, s[0:1]
	v_mul_lo_u32 v8, v4, s28
	v_mul_lo_u32 v13, v3, s29
	v_mad_u64_u32 v[11:12], s[0:1], v3, s28, 0
	s_load_dwordx2 s[0:1], s[22:23], 0x0
	s_load_dwordx2 s[28:29], s[6:7], 0x0
	v_add3_u32 v8, v12, v13, v8
	v_sub_co_u32_e32 v9, vcc, v9, v11
	v_subb_co_u32_e32 v8, vcc, v10, v8, vcc
	s_waitcnt lgkmcnt(0)
	v_mul_lo_u32 v10, s0, v8
	v_mul_lo_u32 v11, s1, v9
	v_mad_u64_u32 v[5:6], s[0:1], s0, v9, v[5:6]
	v_mul_lo_u32 v8, s28, v8
	v_mul_lo_u32 v12, s29, v9
	v_mad_u64_u32 v[1:2], s[0:1], s28, v9, v[1:2]
	s_add_u32 s26, s26, 1
	s_addc_u32 s27, s27, 0
	s_add_u32 s6, s6, 8
	v_add3_u32 v2, v12, v2, v8
	s_addc_u32 s7, s7, 0
	v_mov_b32_e32 v8, s14
	s_add_u32 s22, s22, 8
	v_mov_b32_e32 v9, s15
	s_addc_u32 s23, s23, 0
	v_cmp_ge_u64_e32 vcc, s[26:27], v[8:9]
	s_add_u32 s24, s24, 8
	v_add3_u32 v6, v11, v6, v10
	s_addc_u32 s25, s25, 0
	s_cbranch_vccnz .LBB0_9
; %bb.7:                                ;   in Loop: Header=BB0_2 Depth=1
	v_mov_b32_e32 v10, v4
	v_mov_b32_e32 v9, v3
	s_branch .LBB0_2
.LBB0_8:
	v_mov_b32_e32 v1, v5
	v_mov_b32_e32 v3, v9
	;; [unrolled: 1-line block ×4, first 2 shown]
.LBB0_9:
	s_lshl_b64 s[22:23], s[14:15], 3
	s_load_dwordx2 s[0:1], s[4:5], 0x28
	s_add_u32 s4, s18, s22
	s_mov_b32 s5, 0x2aaaaab
	v_mul_hi_u32 v7, v0, s5
	s_addc_u32 s5, s19, s23
	s_load_dwordx2 s[4:5], s[4:5], 0x0
	s_waitcnt lgkmcnt(0)
	v_cmp_gt_u64_e32 vcc, s[0:1], v[3:4]
	v_mul_u32_u24_e32 v7, 0x60, v7
	v_sub_u32_e32 v0, v0, v7
	v_mov_b32_e32 v8, 0
	v_mov_b32_e32 v39, 0
	;; [unrolled: 1-line block ×17, first 2 shown]
                                        ; implicit-def: $vgpr12
                                        ; implicit-def: $vgpr34
                                        ; implicit-def: $vgpr38
                                        ; implicit-def: $vgpr22
                                        ; implicit-def: $vgpr30
                                        ; implicit-def: $vgpr32
                                        ; implicit-def: $vgpr36
                                        ; implicit-def: $vgpr28
	s_and_saveexec_b64 s[6:7], vcc
	s_cbranch_execz .LBB0_13
; %bb.10:
	v_cmp_gt_u32_e64 s[0:1], 36, v0
	v_mov_b32_e32 v13, 0
	v_mov_b32_e32 v14, 0
	;; [unrolled: 1-line block ×16, first 2 shown]
                                        ; implicit-def: $vgpr27
                                        ; implicit-def: $vgpr35
                                        ; implicit-def: $vgpr31
                                        ; implicit-def: $vgpr29
                                        ; implicit-def: $vgpr21
                                        ; implicit-def: $vgpr37
                                        ; implicit-def: $vgpr33
                                        ; implicit-def: $vgpr11
	s_and_saveexec_b64 s[14:15], s[0:1]
	s_cbranch_execz .LBB0_12
; %bb.11:
	s_add_u32 s0, s16, s22
	s_addc_u32 s1, s17, s23
	s_load_dwordx2 s[0:1], s[0:1], 0x0
	v_mad_u64_u32 v[7:8], s[16:17], s20, v0, 0
	v_lshlrev_b64 v[5:6], 3, v[5:6]
	s_waitcnt lgkmcnt(0)
	v_mul_lo_u32 v13, s1, v3
	v_mul_lo_u32 v14, s0, v4
	v_mad_u64_u32 v[9:10], s[0:1], s0, v3, 0
	v_mad_u64_u32 v[11:12], s[0:1], s21, v0, v[8:9]
	v_add3_u32 v10, v10, v14, v13
	v_lshlrev_b64 v[9:10], 3, v[9:10]
	v_mov_b32_e32 v8, v11
	v_mov_b32_e32 v11, s9
	v_add_co_u32_e64 v12, s[0:1], s8, v9
	v_add_u32_e32 v13, 36, v0
	v_addc_co_u32_e64 v11, s[0:1], v11, v10, s[0:1]
	v_mad_u64_u32 v[9:10], s[0:1], s20, v13, 0
	v_add_co_u32_e64 v15, s[0:1], v12, v5
	v_addc_co_u32_e64 v16, s[0:1], v11, v6, s[0:1]
	v_lshlrev_b64 v[5:6], 3, v[7:8]
	v_mov_b32_e32 v7, v10
	v_mad_u64_u32 v[7:8], s[0:1], s21, v13, v[7:8]
	v_add_u32_e32 v13, 0x48, v0
	v_mad_u64_u32 v[11:12], s[0:1], s20, v13, 0
	v_mov_b32_e32 v10, v7
	v_add_co_u32_e64 v5, s[0:1], v15, v5
	v_lshlrev_b64 v[7:8], 3, v[9:10]
	v_mov_b32_e32 v9, v12
	v_addc_co_u32_e64 v6, s[0:1], v16, v6, s[0:1]
	v_mad_u64_u32 v[9:10], s[0:1], s21, v13, v[9:10]
	v_add_u32_e32 v10, 0x6c, v0
	v_mad_u64_u32 v[13:14], s[0:1], s20, v10, 0
	v_add_co_u32_e64 v27, s[0:1], v15, v7
	v_mov_b32_e32 v12, v9
	v_mov_b32_e32 v9, v14
	v_addc_co_u32_e64 v28, s[0:1], v16, v8, s[0:1]
	v_lshlrev_b64 v[7:8], 3, v[11:12]
	v_mad_u64_u32 v[9:10], s[0:1], s21, v10, v[9:10]
	v_add_u32_e32 v12, 0x90, v0
	v_mad_u64_u32 v[10:11], s[0:1], s20, v12, 0
	v_add_co_u32_e64 v31, s[0:1], v15, v7
	v_mov_b32_e32 v14, v9
	v_mov_b32_e32 v9, v11
	v_addc_co_u32_e64 v32, s[0:1], v16, v8, s[0:1]
	v_lshlrev_b64 v[7:8], 3, v[13:14]
	v_mad_u64_u32 v[11:12], s[0:1], s21, v12, v[9:10]
	v_add_u32_e32 v14, 0xb4, v0
	v_mad_u64_u32 v[12:13], s[0:1], s20, v14, 0
	v_add_co_u32_e64 v35, s[0:1], v15, v7
	v_mov_b32_e32 v9, v13
	v_addc_co_u32_e64 v36, s[0:1], v16, v8, s[0:1]
	v_lshlrev_b64 v[7:8], 3, v[10:11]
	v_mad_u64_u32 v[9:10], s[0:1], s21, v14, v[9:10]
	v_add_u32_e32 v14, 0xd8, v0
	v_mad_u64_u32 v[10:11], s[0:1], s20, v14, 0
	v_add_co_u32_e64 v39, s[0:1], v15, v7
	v_mov_b32_e32 v13, v9
	v_mov_b32_e32 v9, v11
	v_addc_co_u32_e64 v40, s[0:1], v16, v8, s[0:1]
	v_lshlrev_b64 v[7:8], 3, v[12:13]
	v_mad_u64_u32 v[11:12], s[0:1], s21, v14, v[9:10]
	v_add_u32_e32 v14, 0xfc, v0
	v_mad_u64_u32 v[12:13], s[0:1], s20, v14, 0
	v_add_co_u32_e64 v41, s[0:1], v15, v7
	;; [unrolled: 15-line block ×6, first 2 shown]
	v_mov_b32_e32 v9, v13
	v_addc_co_u32_e64 v58, s[0:1], v16, v8, s[0:1]
	v_lshlrev_b64 v[7:8], 3, v[10:11]
	v_mad_u64_u32 v[9:10], s[0:1], s21, v14, v[9:10]
	v_add_co_u32_e64 v59, s[0:1], v15, v7
	v_mov_b32_e32 v13, v9
	v_addc_co_u32_e64 v60, s[0:1], v16, v8, s[0:1]
	v_lshlrev_b64 v[7:8], 3, v[12:13]
	v_add_co_u32_e64 v61, s[0:1], v15, v7
	v_addc_co_u32_e64 v62, s[0:1], v16, v8, s[0:1]
	global_load_dwordx2 v[7:8], v[5:6], off
	global_load_dwordx2 v[17:18], v[27:28], off
	;; [unrolled: 1-line block ×13, first 2 shown]
                                        ; kill: killed $vgpr53 killed $vgpr54
                                        ; kill: killed $vgpr43 killed $vgpr44
                                        ; kill: killed $vgpr27 killed $vgpr28
                                        ; kill: killed $vgpr47 killed $vgpr48
                                        ; kill: killed $vgpr35 killed $vgpr36
                                        ; kill: killed $vgpr51 killed $vgpr52
                                        ; kill: killed $vgpr41 killed $vgpr42
                                        ; kill: killed $vgpr5 killed $vgpr6
                                        ; kill: killed $vgpr55 killed $vgpr56
                                        ; kill: killed $vgpr45 killed $vgpr46
                                        ; kill: killed $vgpr31 killed $vgpr32
                                        ; kill: killed $vgpr49 killed $vgpr50
                                        ; kill: killed $vgpr39 killed $vgpr40
	global_load_dwordx2 v[31:32], v[57:58], off
	global_load_dwordx2 v[35:36], v[59:60], off
	;; [unrolled: 1-line block ×3, first 2 shown]
.LBB0_12:
	s_or_b64 exec, exec, s[14:15]
	v_mov_b32_e32 v39, v0
.LBB0_13:
	s_or_b64 exec, exec, s[6:7]
	s_waitcnt vmcnt(5)
	v_sub_f32_e32 v6, v23, v37
	v_sub_f32_e32 v37, v24, v38
	v_fma_f32 v5, v23, 2.0, -v6
	v_fma_f32 v23, v24, 2.0, -v37
	s_waitcnt vmcnt(1)
	v_sub_f32_e32 v24, v25, v35
	v_sub_f32_e32 v35, v26, v36
	v_fma_f32 v25, v25, 2.0, -v24
	v_sub_f32_e32 v33, v17, v33
	v_sub_f32_e32 v34, v18, v34
	;; [unrolled: 1-line block ×4, first 2 shown]
	v_fma_f32 v26, v26, 2.0, -v35
	v_fma_f32 v36, v17, 2.0, -v33
	;; [unrolled: 1-line block ×5, first 2 shown]
	v_sub_f32_e32 v21, v15, v21
	v_sub_f32_e32 v38, v16, v22
	s_waitcnt vmcnt(0)
	v_sub_f32_e32 v27, v13, v27
	v_sub_f32_e32 v28, v14, v28
	;; [unrolled: 1-line block ×4, first 2 shown]
	v_add_f32_e32 v24, v37, v24
	v_sub_f32_e32 v41, v33, v32
	v_add_f32_e32 v42, v34, v31
	v_fma_f32 v15, v15, 2.0, -v21
	v_fma_f32 v16, v16, 2.0, -v38
	;; [unrolled: 1-line block ×4, first 2 shown]
	v_sub_f32_e32 v22, v23, v26
	v_fma_f32 v26, v6, 2.0, -v25
	v_fma_f32 v35, v37, 2.0, -v24
	v_sub_f32_e32 v37, v36, v19
	v_sub_f32_e32 v40, v18, v20
	v_fma_f32 v32, v33, 2.0, -v41
	v_fma_f32 v33, v34, 2.0, -v42
	v_sub_f32_e32 v43, v21, v28
	v_add_f32_e32 v44, v38, v27
	v_fma_f32 v6, v36, 2.0, -v37
	v_fma_f32 v19, v18, 2.0, -v40
	v_sub_f32_e32 v13, v15, v13
	v_sub_f32_e32 v14, v16, v14
	v_fma_f32 v36, v21, 2.0, -v43
	v_fma_f32 v38, v38, 2.0, -v44
	v_mul_f32_e32 v31, 0x3f3504f3, v26
	v_mul_f32_e32 v26, 0x3f3504f3, v25
	;; [unrolled: 1-line block ×3, first 2 shown]
	v_mov_b32_e32 v18, v32
	v_mov_b32_e32 v21, v33
	;; [unrolled: 1-line block ×4, first 2 shown]
	v_fma_f32 v15, v15, 2.0, -v13
	v_fma_f32 v16, v16, 2.0, -v14
	v_fmac_f32_e32 v18, 0xbf3504f3, v36
	v_fmac_f32_e32 v21, 0xbf3504f3, v38
	v_sub_f32_e32 v14, v37, v14
	v_add_f32_e32 v13, v40, v13
	v_fmac_f32_e32 v24, 0x3f3504f3, v43
	v_fmac_f32_e32 v25, 0x3f3504f3, v44
	v_sub_f32_e32 v20, v6, v15
	v_sub_f32_e32 v27, v19, v16
	v_fmac_f32_e32 v18, 0xbf3504f3, v38
	v_fmac_f32_e32 v21, 0x3f3504f3, v36
	v_fma_f32 v15, v37, 2.0, -v14
	v_fma_f32 v16, v40, 2.0, -v13
	v_fmac_f32_e32 v24, 0xbf3504f3, v44
	v_fmac_f32_e32 v25, 0x3f3504f3, v43
	v_sub_f32_e32 v29, v9, v29
	v_sub_f32_e32 v30, v10, v30
	v_mul_f32_e32 v34, 0x3f3504f3, v35
	v_fma_f32 v32, v32, 2.0, -v18
	v_fma_f32 v36, v33, 2.0, -v21
	;; [unrolled: 1-line block ×4, first 2 shown]
	v_mul_f32_e32 v40, 0x3f3504f3, v15
	v_mul_f32_e32 v41, 0x3f3504f3, v16
	;; [unrolled: 1-line block ×4, first 2 shown]
	v_cmp_gt_u32_e64 s[0:1], 36, v0
	s_and_saveexec_b64 s[6:7], s[0:1]
	s_cbranch_execz .LBB0_15
; %bb.14:
	v_sub_f32_e32 v11, v7, v11
	v_sub_f32_e32 v42, v11, v30
	v_add_f32_e32 v13, v42, v26
	v_sub_f32_e32 v43, v13, v28
	v_mov_b32_e32 v14, v43
	v_fma_f32 v7, v7, 2.0, -v11
	v_fma_f32 v9, v9, 2.0, -v29
	v_fmac_f32_e32 v14, 0x3f6c835e, v24
	v_sub_f32_e32 v9, v7, v9
	v_fmac_f32_e32 v14, 0xbec3ef15, v25
	v_fma_f32 v46, v7, 2.0, -v9
	v_fma_f32 v7, v42, 2.0, -v43
	;; [unrolled: 1-line block ×3, first 2 shown]
	v_mov_b32_e32 v43, v7
	v_fma_f32 v11, v11, 2.0, -v42
	v_fmac_f32_e32 v43, 0xbec3ef15, v37
	v_sub_f32_e32 v44, v9, v22
	v_sub_f32_e32 v45, v11, v31
	v_fmac_f32_e32 v43, 0xbf6c835e, v38
	v_sub_f32_e32 v48, v45, v34
	v_fma_f32 v45, v7, 2.0, -v43
	v_fma_f32 v7, v9, 2.0, -v44
	v_add_f32_e32 v13, v44, v33
	v_sub_f32_e32 v9, v7, v40
	v_sub_f32_e32 v13, v13, v35
	v_fma_f32 v5, v5, 2.0, -v17
	v_sub_f32_e32 v42, v9, v41
	v_fma_f32 v9, v11, 2.0, -v48
	v_fma_f32 v15, v44, 2.0, -v13
	v_sub_f32_e32 v5, v46, v5
	v_fma_f32 v44, v7, 2.0, -v42
	v_mov_b32_e32 v7, v9
	v_fmac_f32_e32 v7, 0xbf6c835e, v32
	v_fma_f32 v11, v46, 2.0, -v5
	v_fma_f32 v6, v6, 2.0, -v20
	v_fmac_f32_e32 v7, 0xbec3ef15, v36
	v_sub_f32_e32 v6, v11, v6
	v_fma_f32 v47, v9, 2.0, -v7
	v_fma_f32 v46, v11, 2.0, -v6
	v_lshl_add_u32 v9, v0, 6, 0
	ds_write2_b64 v9, v[46:47], v[44:45] offset1:1
	v_mov_b32_e32 v45, v48
	v_fmac_f32_e32 v45, 0x3ec3ef15, v18
	v_fmac_f32_e32 v45, 0xbf6c835e, v21
	v_sub_f32_e32 v44, v5, v27
	v_fma_f32 v47, v48, 2.0, -v45
	v_fma_f32 v46, v5, 2.0, -v44
	ds_write2_b64 v9, v[46:47], v[15:16] offset0:2 offset1:3
	ds_write2_b64 v9, v[6:7], v[42:43] offset0:4 offset1:5
	;; [unrolled: 1-line block ×3, first 2 shown]
.LBB0_15:
	s_or_b64 exec, exec, s[6:7]
	v_lshl_add_u32 v11, v0, 2, 0
	v_add_u32_e32 v7, 0x200, v11
	v_add_u32_e32 v9, 0x400, v11
	s_waitcnt lgkmcnt(0)
	s_barrier
	ds_read2_b32 v[5:6], v11 offset1:96
	ds_read2_b32 v[15:16], v7 offset0:64 offset1:160
	ds_read2_b32 v[13:14], v9 offset0:128 offset1:224
	s_waitcnt lgkmcnt(0)
	s_barrier
	s_and_saveexec_b64 s[6:7], s[0:1]
	s_cbranch_execz .LBB0_17
; %bb.16:
	v_sub_f32_e32 v12, v8, v12
	v_fma_f32 v8, v8, 2.0, -v12
	v_fma_f32 v10, v10, 2.0, -v30
	v_sub_f32_e32 v10, v8, v10
	v_add_f32_e32 v29, v12, v29
	v_fma_f32 v8, v8, 2.0, -v10
	v_fma_f32 v12, v12, 2.0, -v29
	;; [unrolled: 1-line block ×3, first 2 shown]
	v_sub_f32_e32 v42, v8, v22
	v_sub_f32_e32 v22, v12, v34
	v_fma_f32 v8, v8, 2.0, -v42
	v_add_f32_e32 v34, v31, v22
	v_add_f32_e32 v43, v10, v17
	;; [unrolled: 1-line block ×3, first 2 shown]
	v_fma_f32 v19, v19, 2.0, -v27
	v_fma_f32 v12, v12, 2.0, -v34
	;; [unrolled: 1-line block ×3, first 2 shown]
	v_add_f32_e32 v44, v26, v17
	v_sub_f32_e32 v22, v8, v19
	v_fma_f32 v17, v29, 2.0, -v44
	v_fma_f32 v26, v8, 2.0, -v22
	v_mov_b32_e32 v23, v12
	v_sub_f32_e32 v8, v10, v41
	v_fmac_f32_e32 v23, 0xbf6c835e, v36
	v_add_f32_e32 v28, v40, v8
	v_mov_b32_e32 v29, v17
	v_add_f32_e32 v8, v43, v35
	v_fmac_f32_e32 v23, 0x3ec3ef15, v32
	v_fmac_f32_e32 v29, 0xbec3ef15, v38
	v_add_f32_e32 v19, v42, v20
	v_mov_b32_e32 v20, v34
	v_add_f32_e32 v32, v33, v8
	v_mov_b32_e32 v33, v44
	v_fmac_f32_e32 v29, 0x3f6c835e, v37
	v_fmac_f32_e32 v20, 0x3ec3ef15, v21
	v_fmac_f32_e32 v33, 0x3f6c835e, v25
	v_fma_f32 v27, v12, 2.0, -v23
	v_fma_f32 v30, v10, 2.0, -v28
	;; [unrolled: 1-line block ×3, first 2 shown]
	v_fmac_f32_e32 v20, 0x3f6c835e, v18
	v_fmac_f32_e32 v33, 0x3ec3ef15, v24
	v_mad_u32_u24 v8, v0, 60, v11
	v_fma_f32 v17, v42, 2.0, -v19
	v_fma_f32 v18, v34, 2.0, -v20
	;; [unrolled: 1-line block ×4, first 2 shown]
	ds_write2_b64 v8, v[26:27], v[30:31] offset1:1
	ds_write2_b64 v8, v[17:18], v[34:35] offset0:2 offset1:3
	ds_write2_b64 v8, v[22:23], v[28:29] offset0:4 offset1:5
	;; [unrolled: 1-line block ×3, first 2 shown]
.LBB0_17:
	s_or_b64 exec, exec, s[6:7]
	v_and_b32_e32 v8, 15, v0
	v_mul_u32_u24_e32 v10, 5, v8
	v_lshlrev_b32_e32 v10, 3, v10
	s_waitcnt lgkmcnt(0)
	s_barrier
	global_load_dwordx4 v[17:20], v10, s[12:13]
	global_load_dwordx4 v[21:24], v10, s[12:13] offset:16
	global_load_dwordx2 v[25:26], v10, s[12:13] offset:32
	ds_read2_b32 v[27:28], v11 offset1:96
	ds_read2_b32 v[29:30], v7 offset0:64 offset1:160
	ds_read2_b32 v[31:32], v9 offset0:128 offset1:224
	v_lshrrev_b32_e32 v10, 4, v0
	v_mul_u32_u24_e32 v10, 0x60, v10
	v_or_b32_e32 v8, v10, v8
	v_lshl_add_u32 v12, v8, 2, 0
	s_waitcnt vmcnt(0) lgkmcnt(0)
	s_barrier
	v_mul_f32_e32 v10, v6, v18
	v_mul_f32_e32 v33, v30, v22
	;; [unrolled: 1-line block ×10, first 2 shown]
	v_fmac_f32_e32 v10, v28, v17
	v_fmac_f32_e32 v22, v30, v21
	;; [unrolled: 1-line block ×3, first 2 shown]
	v_fma_f32 v6, v6, v17, -v8
	v_fma_f32 v8, v15, v19, -v18
	v_fmac_f32_e32 v20, v29, v19
	v_fma_f32 v15, v16, v21, -v33
	v_fmac_f32_e32 v24, v31, v23
	v_fma_f32 v14, v14, v25, -v35
	v_sub_f32_e32 v25, v22, v26
	v_add_f32_e32 v28, v10, v22
	v_add_f32_e32 v22, v22, v26
	v_fma_f32 v13, v13, v23, -v34
	v_sub_f32_e32 v18, v20, v24
	v_add_f32_e32 v19, v27, v20
	v_add_f32_e32 v20, v20, v24
	;; [unrolled: 1-line block ×3, first 2 shown]
	v_fmac_f32_e32 v10, -0.5, v22
	v_add_f32_e32 v16, v5, v8
	v_add_f32_e32 v17, v8, v13
	;; [unrolled: 1-line block ×3, first 2 shown]
	v_sub_f32_e32 v15, v15, v14
	v_fmac_f32_e32 v27, -0.5, v20
	v_fmac_f32_e32 v6, -0.5, v23
	v_mov_b32_e32 v22, v10
	v_sub_f32_e32 v8, v8, v13
	v_add_f32_e32 v13, v16, v13
	v_fmac_f32_e32 v5, -0.5, v17
	v_add_f32_e32 v16, v19, v24
	v_add_f32_e32 v14, v21, v14
	;; [unrolled: 1-line block ×3, first 2 shown]
	v_mov_b32_e32 v20, v27
	v_mov_b32_e32 v21, v6
	v_fmac_f32_e32 v6, 0xbf5db3d7, v25
	v_fmac_f32_e32 v22, 0xbf5db3d7, v15
	v_mov_b32_e32 v19, v5
	v_fmac_f32_e32 v27, 0x3f5db3d7, v8
	v_fmac_f32_e32 v10, 0x3f5db3d7, v15
	v_add_f32_e32 v23, v13, v14
	v_add_f32_e32 v24, v16, v17
	v_sub_f32_e32 v13, v13, v14
	v_sub_f32_e32 v14, v16, v17
	v_fmac_f32_e32 v20, 0xbf5db3d7, v8
	v_fmac_f32_e32 v21, 0x3f5db3d7, v25
	v_mul_f32_e32 v8, -0.5, v6
	v_mul_f32_e32 v16, 0x3f5db3d7, v22
	v_fmac_f32_e32 v5, 0xbf5db3d7, v18
	v_fmac_f32_e32 v19, 0x3f5db3d7, v18
	v_mul_f32_e32 v15, -0.5, v10
	v_fmac_f32_e32 v8, 0x3f5db3d7, v10
	v_mul_f32_e32 v10, 0xbf5db3d7, v21
	v_fmac_f32_e32 v16, 0.5, v21
	v_fmac_f32_e32 v15, 0xbf5db3d7, v6
	v_add_f32_e32 v6, v5, v8
	v_fmac_f32_e32 v10, 0.5, v22
	v_sub_f32_e32 v5, v5, v8
	v_add_f32_e32 v8, v19, v16
	v_add_f32_e32 v18, v20, v10
	v_sub_f32_e32 v16, v19, v16
	v_sub_f32_e32 v19, v20, v10
	ds_write2_b32 v12, v6, v13 offset0:32 offset1:48
	ds_write2_b32 v12, v23, v8 offset1:16
	ds_write2_b32 v12, v16, v5 offset0:64 offset1:80
	s_waitcnt lgkmcnt(0)
	s_barrier
	ds_read2_b32 v[5:6], v11 offset1:96
	ds_read2_b32 v[7:8], v7 offset0:64 offset1:160
	ds_read2_b32 v[9:10], v9 offset0:128 offset1:224
	v_add_f32_e32 v17, v27, v15
	v_sub_f32_e32 v15, v27, v15
	s_waitcnt lgkmcnt(0)
	s_barrier
	ds_write2_b32 v12, v24, v18 offset1:16
	ds_write2_b32 v12, v17, v14 offset0:32 offset1:48
	ds_write2_b32 v12, v19, v15 offset0:64 offset1:80
	s_waitcnt lgkmcnt(0)
	s_barrier
	s_and_saveexec_b64 s[0:1], vcc
	s_cbranch_execz .LBB0_19
; %bb.18:
	v_mul_u32_u24_e32 v0, 5, v0
	v_lshlrev_b32_e32 v0, 3, v0
	global_load_dwordx4 v[12:15], v0, s[12:13] offset:640
	global_load_dwordx4 v[16:19], v0, s[12:13] offset:656
	global_load_dwordx2 v[20:21], v0, s[12:13] offset:672
	v_mul_lo_u32 v0, s5, v3
	v_mul_lo_u32 v30, s4, v4
	v_mad_u64_u32 v[3:4], s[0:1], s4, v3, 0
	v_add_u32_e32 v26, 0x200, v11
	v_add_u32_e32 v28, 0x400, v11
	v_mad_u64_u32 v[24:25], s[0:1], s2, v39, 0
	ds_read2_b32 v[22:23], v11 offset1:96
	ds_read2_b32 v[26:27], v26 offset0:64 offset1:160
	ds_read2_b32 v[28:29], v28 offset0:128 offset1:224
	v_add3_u32 v4, v4, v30, v0
	v_mov_b32_e32 v0, v25
	v_mad_u64_u32 v[30:31], s[0:1], s3, v39, v[0:1]
	v_lshlrev_b64 v[3:4], 3, v[3:4]
	s_waitcnt vmcnt(2) lgkmcnt(1)
	v_mul_f32_e32 v0, v26, v15
	s_waitcnt vmcnt(1) lgkmcnt(0)
	v_mul_f32_e32 v11, v28, v19
	v_mul_f32_e32 v31, v27, v17
	s_waitcnt vmcnt(0)
	v_mul_f32_e32 v32, v29, v21
	v_mul_f32_e32 v15, v7, v15
	;; [unrolled: 1-line block ×7, first 2 shown]
	v_fma_f32 v0, v7, v14, -v0
	v_fma_f32 v7, v9, v18, -v11
	;; [unrolled: 1-line block ×4, first 2 shown]
	v_fmac_f32_e32 v15, v14, v26
	v_fma_f32 v6, v6, v12, -v25
	v_fmac_f32_e32 v17, v16, v27
	v_fmac_f32_e32 v21, v20, v29
	;; [unrolled: 1-line block ×3, first 2 shown]
	v_add_f32_e32 v12, v8, v9
	v_fmac_f32_e32 v19, v18, v28
	v_sub_f32_e32 v10, v0, v7
	v_sub_f32_e32 v16, v8, v9
	v_add_f32_e32 v18, v17, v21
	v_add_f32_e32 v20, v15, v22
	;; [unrolled: 1-line block ×5, first 2 shown]
	v_fma_f32 v12, -0.5, v12, v6
	v_add_f32_e32 v11, v15, v19
	v_sub_f32_e32 v14, v17, v21
	v_add_f32_e32 v17, v13, v17
	v_sub_f32_e32 v15, v15, v19
	v_fma_f32 v13, -0.5, v18, v13
	v_add_f32_e32 v18, v19, v20
	v_fma_f32 v19, -0.5, v23, v5
	v_add_f32_e32 v0, v0, v7
	v_add_f32_e32 v7, v8, v9
	v_mov_b32_e32 v9, v12
	v_fma_f32 v11, -0.5, v11, v22
	v_add_f32_e32 v17, v17, v21
	v_mov_b32_e32 v21, v13
	v_fmac_f32_e32 v13, 0xbf5db3d7, v16
	v_fmac_f32_e32 v12, 0x3f5db3d7, v14
	v_mov_b32_e32 v22, v19
	v_fmac_f32_e32 v9, 0xbf5db3d7, v14
	v_sub_f32_e32 v6, v18, v17
	v_fmac_f32_e32 v19, 0x3f5db3d7, v15
	v_add_f32_e32 v8, v18, v17
	v_fmac_f32_e32 v21, 0x3f5db3d7, v16
	v_mul_f32_e32 v14, 0xbf5db3d7, v12
	v_fmac_f32_e32 v22, 0xbf5db3d7, v15
	v_mul_f32_e32 v15, 0x3f5db3d7, v13
	v_mul_f32_e32 v17, -0.5, v9
	v_mov_b32_e32 v20, v11
	v_fmac_f32_e32 v11, 0xbf5db3d7, v10
	v_mul_f32_e32 v16, -0.5, v21
	v_fmac_f32_e32 v14, 0.5, v13
	v_fmac_f32_e32 v15, 0.5, v12
	v_fmac_f32_e32 v17, 0x3f5db3d7, v21
	v_sub_f32_e32 v5, v0, v7
	v_fmac_f32_e32 v20, 0x3f5db3d7, v10
	v_fmac_f32_e32 v16, 0xbf5db3d7, v9
	v_sub_f32_e32 v10, v11, v14
	v_sub_f32_e32 v9, v19, v15
	v_add_f32_e32 v12, v11, v14
	v_add_f32_e32 v11, v19, v15
	v_sub_f32_e32 v13, v22, v17
	v_add_f32_e32 v15, v22, v17
	v_add_f32_e32 v7, v0, v7
	v_mov_b32_e32 v0, s11
	v_add_co_u32_e32 v17, vcc, s10, v3
	v_add_u32_e32 v18, 0x60, v39
	v_addc_co_u32_e32 v4, vcc, v0, v4, vcc
	v_lshlrev_b64 v[0:1], 3, v[1:2]
	v_mad_u64_u32 v[2:3], s[0:1], s2, v18, 0
	v_mov_b32_e32 v25, v30
	v_add_co_u32_e32 v17, vcc, v17, v0
	v_addc_co_u32_e32 v19, vcc, v4, v1, vcc
	v_lshlrev_b64 v[0:1], 3, v[24:25]
	v_mad_u64_u32 v[3:4], s[0:1], s3, v18, v[3:4]
	v_add_co_u32_e32 v0, vcc, v17, v0
	v_addc_co_u32_e32 v1, vcc, v19, v1, vcc
	v_add_u32_e32 v4, 0xc0, v39
	global_store_dwordx2 v[0:1], v[7:8], off
	v_lshlrev_b64 v[0:1], 3, v[2:3]
	v_mad_u64_u32 v[2:3], s[0:1], s2, v4, 0
	v_add_co_u32_e32 v0, vcc, v17, v0
	v_mad_u64_u32 v[3:4], s[0:1], s3, v4, v[3:4]
	v_add_u32_e32 v4, 0x120, v39
	v_mad_u64_u32 v[7:8], s[0:1], s2, v4, 0
	v_addc_co_u32_e32 v1, vcc, v19, v1, vcc
	global_store_dwordx2 v[0:1], v[11:12], off
	v_lshlrev_b64 v[0:1], 3, v[2:3]
	v_mov_b32_e32 v2, v8
	v_mad_u64_u32 v[2:3], s[0:1], s3, v4, v[2:3]
	v_or_b32_e32 v4, 0x180, v39
	v_add_co_u32_e32 v0, vcc, v17, v0
	v_mov_b32_e32 v8, v2
	v_mad_u64_u32 v[2:3], s[0:1], s2, v4, 0
	v_sub_f32_e32 v14, v20, v16
	v_add_f32_e32 v16, v20, v16
	v_mad_u64_u32 v[3:4], s[0:1], s3, v4, v[3:4]
	v_addc_co_u32_e32 v1, vcc, v19, v1, vcc
	v_add_u32_e32 v4, 0x1e0, v39
	global_store_dwordx2 v[0:1], v[15:16], off
	v_lshlrev_b64 v[0:1], 3, v[7:8]
	v_mad_u64_u32 v[7:8], s[0:1], s2, v4, 0
	v_add_co_u32_e32 v0, vcc, v17, v0
	v_addc_co_u32_e32 v1, vcc, v19, v1, vcc
	global_store_dwordx2 v[0:1], v[5:6], off
	v_lshlrev_b64 v[0:1], 3, v[2:3]
	v_mov_b32_e32 v2, v8
	v_mad_u64_u32 v[2:3], s[0:1], s3, v4, v[2:3]
	v_add_co_u32_e32 v0, vcc, v17, v0
	v_addc_co_u32_e32 v1, vcc, v19, v1, vcc
	v_mov_b32_e32 v8, v2
	global_store_dwordx2 v[0:1], v[9:10], off
	v_lshlrev_b64 v[0:1], 3, v[7:8]
	v_add_co_u32_e32 v0, vcc, v17, v0
	v_addc_co_u32_e32 v1, vcc, v19, v1, vcc
	global_store_dwordx2 v[0:1], v[13:14], off
.LBB0_19:
	s_endpgm
	.section	.rodata,"a",@progbits
	.p2align	6, 0x0
	.amdhsa_kernel fft_rtc_fwd_len576_factors_16_6_6_wgs_96_tpt_96_halfLds_sp_op_CI_CI_sbrr_dirReg
		.amdhsa_group_segment_fixed_size 0
		.amdhsa_private_segment_fixed_size 0
		.amdhsa_kernarg_size 104
		.amdhsa_user_sgpr_count 6
		.amdhsa_user_sgpr_private_segment_buffer 1
		.amdhsa_user_sgpr_dispatch_ptr 0
		.amdhsa_user_sgpr_queue_ptr 0
		.amdhsa_user_sgpr_kernarg_segment_ptr 1
		.amdhsa_user_sgpr_dispatch_id 0
		.amdhsa_user_sgpr_flat_scratch_init 0
		.amdhsa_user_sgpr_private_segment_size 0
		.amdhsa_uses_dynamic_stack 0
		.amdhsa_system_sgpr_private_segment_wavefront_offset 0
		.amdhsa_system_sgpr_workgroup_id_x 1
		.amdhsa_system_sgpr_workgroup_id_y 0
		.amdhsa_system_sgpr_workgroup_id_z 0
		.amdhsa_system_sgpr_workgroup_info 0
		.amdhsa_system_vgpr_workitem_id 0
		.amdhsa_next_free_vgpr 63
		.amdhsa_next_free_sgpr 32
		.amdhsa_reserve_vcc 1
		.amdhsa_reserve_flat_scratch 0
		.amdhsa_float_round_mode_32 0
		.amdhsa_float_round_mode_16_64 0
		.amdhsa_float_denorm_mode_32 3
		.amdhsa_float_denorm_mode_16_64 3
		.amdhsa_dx10_clamp 1
		.amdhsa_ieee_mode 1
		.amdhsa_fp16_overflow 0
		.amdhsa_exception_fp_ieee_invalid_op 0
		.amdhsa_exception_fp_denorm_src 0
		.amdhsa_exception_fp_ieee_div_zero 0
		.amdhsa_exception_fp_ieee_overflow 0
		.amdhsa_exception_fp_ieee_underflow 0
		.amdhsa_exception_fp_ieee_inexact 0
		.amdhsa_exception_int_div_zero 0
	.end_amdhsa_kernel
	.text
.Lfunc_end0:
	.size	fft_rtc_fwd_len576_factors_16_6_6_wgs_96_tpt_96_halfLds_sp_op_CI_CI_sbrr_dirReg, .Lfunc_end0-fft_rtc_fwd_len576_factors_16_6_6_wgs_96_tpt_96_halfLds_sp_op_CI_CI_sbrr_dirReg
                                        ; -- End function
	.section	.AMDGPU.csdata,"",@progbits
; Kernel info:
; codeLenInByte = 5056
; NumSgprs: 36
; NumVgprs: 63
; ScratchSize: 0
; MemoryBound: 0
; FloatMode: 240
; IeeeMode: 1
; LDSByteSize: 0 bytes/workgroup (compile time only)
; SGPRBlocks: 4
; VGPRBlocks: 15
; NumSGPRsForWavesPerEU: 36
; NumVGPRsForWavesPerEU: 63
; Occupancy: 4
; WaveLimiterHint : 1
; COMPUTE_PGM_RSRC2:SCRATCH_EN: 0
; COMPUTE_PGM_RSRC2:USER_SGPR: 6
; COMPUTE_PGM_RSRC2:TRAP_HANDLER: 0
; COMPUTE_PGM_RSRC2:TGID_X_EN: 1
; COMPUTE_PGM_RSRC2:TGID_Y_EN: 0
; COMPUTE_PGM_RSRC2:TGID_Z_EN: 0
; COMPUTE_PGM_RSRC2:TIDIG_COMP_CNT: 0
	.type	__hip_cuid_fd4cadb01c4baa31,@object ; @__hip_cuid_fd4cadb01c4baa31
	.section	.bss,"aw",@nobits
	.globl	__hip_cuid_fd4cadb01c4baa31
__hip_cuid_fd4cadb01c4baa31:
	.byte	0                               ; 0x0
	.size	__hip_cuid_fd4cadb01c4baa31, 1

	.ident	"AMD clang version 19.0.0git (https://github.com/RadeonOpenCompute/llvm-project roc-6.4.0 25133 c7fe45cf4b819c5991fe208aaa96edf142730f1d)"
	.section	".note.GNU-stack","",@progbits
	.addrsig
	.addrsig_sym __hip_cuid_fd4cadb01c4baa31
	.amdgpu_metadata
---
amdhsa.kernels:
  - .args:
      - .actual_access:  read_only
        .address_space:  global
        .offset:         0
        .size:           8
        .value_kind:     global_buffer
      - .offset:         8
        .size:           8
        .value_kind:     by_value
      - .actual_access:  read_only
        .address_space:  global
        .offset:         16
        .size:           8
        .value_kind:     global_buffer
      - .actual_access:  read_only
        .address_space:  global
        .offset:         24
        .size:           8
        .value_kind:     global_buffer
      - .actual_access:  read_only
        .address_space:  global
        .offset:         32
        .size:           8
        .value_kind:     global_buffer
      - .offset:         40
        .size:           8
        .value_kind:     by_value
      - .actual_access:  read_only
        .address_space:  global
        .offset:         48
        .size:           8
        .value_kind:     global_buffer
      - .actual_access:  read_only
        .address_space:  global
        .offset:         56
        .size:           8
        .value_kind:     global_buffer
      - .offset:         64
        .size:           4
        .value_kind:     by_value
      - .actual_access:  read_only
        .address_space:  global
        .offset:         72
        .size:           8
        .value_kind:     global_buffer
      - .actual_access:  read_only
        .address_space:  global
        .offset:         80
        .size:           8
        .value_kind:     global_buffer
      - .actual_access:  read_only
        .address_space:  global
        .offset:         88
        .size:           8
        .value_kind:     global_buffer
      - .actual_access:  write_only
        .address_space:  global
        .offset:         96
        .size:           8
        .value_kind:     global_buffer
    .group_segment_fixed_size: 0
    .kernarg_segment_align: 8
    .kernarg_segment_size: 104
    .language:       OpenCL C
    .language_version:
      - 2
      - 0
    .max_flat_workgroup_size: 96
    .name:           fft_rtc_fwd_len576_factors_16_6_6_wgs_96_tpt_96_halfLds_sp_op_CI_CI_sbrr_dirReg
    .private_segment_fixed_size: 0
    .sgpr_count:     36
    .sgpr_spill_count: 0
    .symbol:         fft_rtc_fwd_len576_factors_16_6_6_wgs_96_tpt_96_halfLds_sp_op_CI_CI_sbrr_dirReg.kd
    .uniform_work_group_size: 1
    .uses_dynamic_stack: false
    .vgpr_count:     63
    .vgpr_spill_count: 0
    .wavefront_size: 64
amdhsa.target:   amdgcn-amd-amdhsa--gfx906
amdhsa.version:
  - 1
  - 2
...

	.end_amdgpu_metadata
